;; amdgpu-corpus repo=ROCm/rocFFT kind=compiled arch=gfx1201 opt=O3
	.text
	.amdgcn_target "amdgcn-amd-amdhsa--gfx1201"
	.amdhsa_code_object_version 6
	.protected	fft_rtc_fwd_len121_factors_11_11_wgs_121_tpt_11_half_op_CI_CI_sbrc_aligned ; -- Begin function fft_rtc_fwd_len121_factors_11_11_wgs_121_tpt_11_half_op_CI_CI_sbrc_aligned
	.globl	fft_rtc_fwd_len121_factors_11_11_wgs_121_tpt_11_half_op_CI_CI_sbrc_aligned
	.p2align	8
	.type	fft_rtc_fwd_len121_factors_11_11_wgs_121_tpt_11_half_op_CI_CI_sbrc_aligned,@function
fft_rtc_fwd_len121_factors_11_11_wgs_121_tpt_11_half_op_CI_CI_sbrc_aligned: ; @fft_rtc_fwd_len121_factors_11_11_wgs_121_tpt_11_half_op_CI_CI_sbrc_aligned
; %bb.0:
	s_clause 0x1
	s_load_b256 s[4:11], s[0:1], 0x0
	s_load_b64 s[24:25], s[0:1], 0x20
	s_mov_b32 s31, 0
	s_mov_b64 s[36:37], 2
	s_mov_b32 s27, s31
	s_wait_kmcnt 0x0
	s_load_b32 s2, s[8:9], 0x8
	s_load_b128 s[16:19], s[10:11], 0x0
	s_load_b128 s[12:15], s[24:25], 0x0
	s_wait_kmcnt 0x0
	s_add_co_i32 s2, s2, -1
	s_delay_alu instid0(SALU_CYCLE_1) | instskip(NEXT) | instid1(SALU_CYCLE_1)
	s_mul_hi_u32 s2, s2, 0xba2e8ba3
	s_lshr_b32 s2, s2, 3
	s_delay_alu instid0(SALU_CYCLE_1) | instskip(NEXT) | instid1(SALU_CYCLE_1)
	s_add_co_i32 s33, s2, 1
	s_cvt_f32_u32 s2, s33
	s_sub_co_i32 s3, 0, s33
	s_delay_alu instid0(SALU_CYCLE_2) | instskip(NEXT) | instid1(TRANS32_DEP_1)
	v_rcp_iflag_f32_e32 v1, s2
	v_readfirstlane_b32 s2, v1
	s_delay_alu instid0(VALU_DEP_1) | instskip(SKIP_1) | instid1(SALU_CYCLE_2)
	s_mul_f32 s2, s2, 0x4f7ffffe
	s_wait_alu 0xfffe
	s_cvt_u32_f32 s2, s2
	s_wait_alu 0xfffe
	s_delay_alu instid0(SALU_CYCLE_2)
	s_mul_i32 s3, s3, s2
	s_wait_alu 0xfffe
	s_mul_hi_u32 s3, s2, s3
	s_wait_alu 0xfffe
	s_add_co_i32 s2, s2, s3
	s_wait_alu 0xfffe
	s_mul_hi_u32 s3, ttmp9, s2
	s_wait_alu 0xfffe
	s_mul_i32 s2, s3, s33
	s_add_co_i32 s19, s3, 1
	s_wait_alu 0xfffe
	s_sub_co_i32 s15, ttmp9, s2
	s_mov_b32 s2, 3
	s_sub_co_i32 s20, s15, s33
	s_cmp_ge_u32 s15, s33
	s_cselect_b32 s3, s19, s3
	s_cselect_b32 s15, s20, s15
	s_wait_alu 0xfffe
	s_add_co_i32 s19, s3, 1
	s_cmp_ge_u32 s15, s33
	s_cselect_b32 s22, s19, s3
	v_cmp_gt_u64_e64 s3, s[6:7], 2
	s_mul_i32 s15, s22, s33
	s_delay_alu instid0(SALU_CYCLE_1) | instskip(NEXT) | instid1(SALU_CYCLE_1)
	s_sub_co_i32 s15, ttmp9, s15
	s_mul_i32 s26, s15, 11
	s_delay_alu instid0(VALU_DEP_1)
	s_and_b32 vcc_lo, exec_lo, s3
	s_mul_i32 s30, s26, s18
	s_mul_u64 s[20:21], s[12:13], s[26:27]
	s_cbranch_vccz .LBB0_8
; %bb.1:
	s_mov_b32 s34, ttmp9
	s_mov_b32 s35, s31
	s_mov_b64 s[28:29], s[30:31]
	s_mov_b32 s30, s22
.LBB0_2:                                ; =>This Inner Loop Header: Depth=1
	s_lshl_b64 s[36:37], s[36:37], 3
	s_mov_b32 s38, s31
	s_add_nc_u64 s[22:23], s[8:9], s[36:37]
	s_load_b64 s[22:23], s[22:23], 0x0
	s_wait_kmcnt 0x0
	s_mov_b32 s39, s23
	s_delay_alu instid0(SALU_CYCLE_1)
	s_cmp_lg_u64 s[38:39], 0
	s_cbranch_scc0 .LBB0_7
; %bb.3:                                ;   in Loop: Header=BB0_2 Depth=1
	s_cvt_f32_u32 s3, s22
	s_cvt_f32_u32 s15, s23
	s_sub_nc_u64 s[42:43], 0, s[22:23]
	s_mov_b32 s39, 0
	s_mov_b32 s47, s31
	s_wait_alu 0xfffe
	s_fmamk_f32 s3, s15, 0x4f800000, s3
	s_wait_alu 0xfffe
	s_delay_alu instid0(SALU_CYCLE_2) | instskip(NEXT) | instid1(TRANS32_DEP_1)
	v_s_rcp_f32 s3, s3
	s_mul_f32 s3, s3, 0x5f7ffffc
	s_wait_alu 0xfffe
	s_delay_alu instid0(SALU_CYCLE_2) | instskip(NEXT) | instid1(SALU_CYCLE_3)
	s_mul_f32 s15, s3, 0x2f800000
	s_trunc_f32 s15, s15
	s_delay_alu instid0(SALU_CYCLE_3) | instskip(SKIP_2) | instid1(SALU_CYCLE_1)
	s_fmamk_f32 s3, s15, 0xcf800000, s3
	s_cvt_u32_f32 s41, s15
	s_wait_alu 0xfffe
	s_cvt_u32_f32 s40, s3
	s_wait_alu 0xfffe
	s_delay_alu instid0(SALU_CYCLE_2)
	s_mul_u64 s[44:45], s[42:43], s[40:41]
	s_wait_alu 0xfffe
	s_mul_hi_u32 s49, s40, s45
	s_mul_i32 s48, s40, s45
	s_mul_hi_u32 s38, s40, s44
	s_mul_i32 s15, s41, s44
	s_add_nc_u64 s[48:49], s[38:39], s[48:49]
	s_mul_hi_u32 s3, s41, s44
	s_mul_hi_u32 s19, s41, s45
	s_add_co_u32 s15, s48, s15
	s_wait_alu 0xfffe
	s_add_co_ci_u32 s46, s49, s3
	s_mul_i32 s44, s41, s45
	s_add_co_ci_u32 s45, s19, 0
	s_wait_alu 0xfffe
	s_add_nc_u64 s[44:45], s[46:47], s[44:45]
	s_wait_alu 0xfffe
	v_add_co_u32 v1, s3, s40, s44
	s_delay_alu instid0(VALU_DEP_1) | instskip(SKIP_1) | instid1(VALU_DEP_1)
	s_cmp_lg_u32 s3, 0
	s_add_co_ci_u32 s41, s41, s45
	v_readfirstlane_b32 s40, v1
	s_mov_b32 s45, s31
	s_wait_alu 0xfffe
	s_delay_alu instid0(VALU_DEP_1)
	s_mul_u64 s[42:43], s[42:43], s[40:41]
	s_wait_alu 0xfffe
	s_mul_hi_u32 s47, s40, s43
	s_mul_i32 s46, s40, s43
	s_mul_hi_u32 s38, s40, s42
	s_mul_i32 s15, s41, s42
	s_add_nc_u64 s[46:47], s[38:39], s[46:47]
	s_mul_hi_u32 s3, s41, s42
	s_mul_hi_u32 s19, s41, s43
	s_add_co_u32 s15, s46, s15
	s_wait_alu 0xfffe
	s_add_co_ci_u32 s44, s47, s3
	s_mul_i32 s42, s41, s43
	s_add_co_ci_u32 s43, s19, 0
	s_wait_alu 0xfffe
	s_add_nc_u64 s[42:43], s[44:45], s[42:43]
	s_mov_b32 s44, s31
	s_wait_alu 0xfffe
	v_add_co_u32 v1, s3, v1, s42
	s_delay_alu instid0(VALU_DEP_1) | instskip(SKIP_1) | instid1(VALU_DEP_1)
	s_cmp_lg_u32 s3, 0
	s_add_co_ci_u32 s15, s41, s43
	v_readfirstlane_b32 s3, v1
	s_mul_hi_u32 s43, s30, s15
	s_mul_i32 s42, s30, s15
	s_mov_b32 s41, s31
	s_delay_alu instid0(VALU_DEP_1)
	s_mul_hi_u32 s38, s30, s3
	s_wait_alu 0xfffe
	s_add_nc_u64 s[42:43], s[38:39], s[42:43]
	s_wait_alu 0xfffe
	s_mov_b32 s40, s43
	s_wait_alu 0xfffe
	s_or_b64 s[40:41], s[40:41], s[44:45]
	s_mov_b32 s40, s43
	s_wait_alu 0xfffe
	s_mul_u64 s[44:45], s[22:23], s[40:41]
	s_add_nc_u64 s[46:47], s[40:41], 1
	s_wait_alu 0xfffe
	v_sub_co_u32 v1, s3, s30, s44
	s_sub_co_i32 s15, 0, s45
	s_cmp_lg_u32 s3, 0
	s_add_nc_u64 s[48:49], s[40:41], 2
	s_delay_alu instid0(VALU_DEP_1) | instskip(SKIP_2) | instid1(VALU_DEP_1)
	v_sub_co_u32 v2, s19, v1, s22
	s_sub_co_ci_u32 s15, s15, s23
	s_cmp_lg_u32 s19, 0
	v_readfirstlane_b32 s19, v2
	s_sub_co_ci_u32 s15, s15, 0
	s_delay_alu instid0(SALU_CYCLE_1) | instskip(SKIP_1) | instid1(VALU_DEP_1)
	s_cmp_ge_u32 s15, s23
	s_cselect_b32 s27, -1, 0
	s_cmp_ge_u32 s19, s22
	s_cselect_b32 s19, -1, 0
	s_cmp_eq_u32 s15, s23
	s_cselect_b32 s15, s19, s27
	s_delay_alu instid0(SALU_CYCLE_1)
	s_cmp_lg_u32 s15, 0
	s_cselect_b32 s15, s48, s46
	s_cselect_b32 s19, s49, s47
	s_cmp_lg_u32 s3, 0
	v_readfirstlane_b32 s3, v1
	s_sub_co_ci_u32 s27, 0, s45
	s_delay_alu instid0(SALU_CYCLE_1) | instskip(SKIP_1) | instid1(VALU_DEP_1)
	s_cmp_ge_u32 s27, s23
	s_cselect_b32 s38, -1, 0
	s_cmp_ge_u32 s3, s22
	s_cselect_b32 s3, -1, 0
	s_cmp_eq_u32 s27, s23
	s_wait_alu 0xfffe
	s_cselect_b32 s3, s3, s38
	s_wait_alu 0xfffe
	s_cmp_lg_u32 s3, 0
	s_cselect_b32 s41, s19, s41
	s_cselect_b32 s40, s15, s43
	s_cbranch_execnz .LBB0_5
.LBB0_4:                                ;   in Loop: Header=BB0_2 Depth=1
	v_cvt_f32_u32_e32 v1, s22
	s_sub_co_i32 s15, 0, s22
	s_mov_b32 s41, s31
	s_delay_alu instid0(VALU_DEP_1) | instskip(NEXT) | instid1(TRANS32_DEP_1)
	v_rcp_iflag_f32_e32 v1, v1
	v_mul_f32_e32 v1, 0x4f7ffffe, v1
	s_delay_alu instid0(VALU_DEP_1) | instskip(NEXT) | instid1(VALU_DEP_1)
	v_cvt_u32_f32_e32 v1, v1
	v_readfirstlane_b32 s3, v1
	s_delay_alu instid0(VALU_DEP_1) | instskip(NEXT) | instid1(SALU_CYCLE_1)
	s_mul_i32 s15, s15, s3
	s_mul_hi_u32 s15, s3, s15
	s_delay_alu instid0(SALU_CYCLE_1)
	s_add_co_i32 s3, s3, s15
	s_wait_alu 0xfffe
	s_mul_hi_u32 s3, s30, s3
	s_wait_alu 0xfffe
	s_mul_i32 s15, s3, s22
	s_add_co_i32 s19, s3, 1
	s_sub_co_i32 s15, s30, s15
	s_delay_alu instid0(SALU_CYCLE_1)
	s_sub_co_i32 s27, s15, s22
	s_cmp_ge_u32 s15, s22
	s_cselect_b32 s3, s19, s3
	s_cselect_b32 s15, s27, s15
	s_wait_alu 0xfffe
	s_add_co_i32 s19, s3, 1
	s_cmp_ge_u32 s15, s22
	s_cselect_b32 s40, s19, s3
.LBB0_5:                                ;   in Loop: Header=BB0_2 Depth=1
	s_add_nc_u64 s[38:39], s[10:11], s[36:37]
	s_add_nc_u64 s[36:37], s[24:25], s[36:37]
	s_load_b64 s[38:39], s[38:39], 0x0
	s_load_b64 s[42:43], s[36:37], 0x0
	s_mov_b32 s3, s31
	s_mul_u64 s[36:37], s[40:41], s[22:23]
	s_wait_alu 0xfffe
	v_cmp_ge_u64_e64 s15, s[2:3], s[6:7]
	s_mul_i32 s33, s33, s22
	s_sub_nc_u64 s[22:23], s[30:31], s[36:37]
	s_mov_b64 s[36:37], s[2:3]
	s_add_co_i32 s2, s2, 1
	s_delay_alu instid0(VALU_DEP_1)
	s_and_b32 vcc_lo, exec_lo, s15
	s_wait_kmcnt 0x0
	s_wait_alu 0xfffe
	s_mul_u64 s[38:39], s[38:39], s[22:23]
	s_mul_u64 s[22:23], s[42:43], s[22:23]
	s_add_nc_u64 s[28:29], s[38:39], s[28:29]
	s_wait_alu 0xfffe
	s_add_nc_u64 s[20:21], s[22:23], s[20:21]
	s_cbranch_vccnz .LBB0_9
; %bb.6:                                ;   in Loop: Header=BB0_2 Depth=1
	s_mov_b32 s30, s40
	s_branch .LBB0_2
.LBB0_7:                                ;   in Loop: Header=BB0_2 Depth=1
                                        ; implicit-def: $sgpr40_sgpr41
	s_branch .LBB0_4
.LBB0_8:
	s_mov_b64 s[28:29], s[30:31]
	s_branch .LBB0_10
.LBB0_9:
	s_cvt_f32_u32 s2, s33
	s_sub_co_i32 s3, 0, s33
	s_wait_alu 0xfffe
	s_delay_alu instid0(SALU_CYCLE_1) | instskip(NEXT) | instid1(TRANS32_DEP_1)
	v_rcp_iflag_f32_e32 v1, s2
	v_readfirstlane_b32 s2, v1
	s_delay_alu instid0(VALU_DEP_1) | instskip(SKIP_1) | instid1(SALU_CYCLE_2)
	s_mul_f32 s2, s2, 0x4f7ffffe
	s_wait_alu 0xfffe
	s_cvt_u32_f32 s2, s2
	s_wait_alu 0xfffe
	s_delay_alu instid0(SALU_CYCLE_2)
	s_mul_i32 s3, s3, s2
	s_wait_alu 0xfffe
	s_mul_hi_u32 s8, s2, s3
	s_mov_b32 s3, 0
	s_add_co_i32 s2, s2, s8
	s_wait_alu 0xfffe
	s_mul_u64 s[2:3], s[34:35], s[2:3]
	s_wait_alu 0xfffe
	s_mul_i32 s2, s3, s33
	s_add_co_i32 s8, s3, 1
	s_wait_alu 0xfffe
	s_sub_co_i32 s2, ttmp9, s2
	s_wait_alu 0xfffe
	s_sub_co_i32 s9, s2, s33
	s_cmp_ge_u32 s2, s33
	s_cselect_b32 s3, s8, s3
	s_cselect_b32 s2, s9, s2
	s_wait_alu 0xfffe
	s_add_co_i32 s8, s3, 1
	s_cmp_ge_u32 s2, s33
	s_cselect_b32 s22, s8, s3
.LBB0_10:
	v_mul_u32_u24_e32 v1, 0x21e, v0
	s_lshl_b64 s[6:7], s[6:7], 3
	s_load_b128 s[0:3], s[0:1], 0x58
	s_add_nc_u64 s[8:9], s[10:11], s[6:7]
	s_mov_b32 s23, 0
	v_lshrrev_b32_e32 v24, 16, v1
	s_load_b64 s[8:9], s[8:9], 0x0
	s_lshl_b64 s[10:11], s[28:29], 2
	s_delay_alu instid0(VALU_DEP_1) | instskip(SKIP_2) | instid1(VALU_DEP_3)
	v_mul_lo_u16 v1, 0x79, v24
	v_mul_lo_u32 v8, s18, v24
	v_mov_b32_e32 v9, 0
	v_sub_nc_u16 v3, v0, v1
	s_delay_alu instid0(VALU_DEP_2) | instskip(SKIP_1) | instid1(VALU_DEP_3)
	v_lshlrev_b64_e32 v[1:2], 2, v[8:9]
	v_add_nc_u32_e32 v8, s18, v8
	v_and_b32_e32 v25, 0xffff, v3
	s_delay_alu instid0(VALU_DEP_2) | instskip(NEXT) | instid1(VALU_DEP_2)
	v_lshlrev_b64_e32 v[3:4], 2, v[8:9]
	v_mad_co_u64_u32 v[5:6], null, s16, v25, 0
	v_add_nc_u32_e32 v8, s18, v8
	s_wait_kmcnt 0x0
	s_mul_u64 s[8:9], s[8:9], s[22:23]
	s_delay_alu instid0(SALU_CYCLE_1) | instskip(NEXT) | instid1(SALU_CYCLE_1)
	s_lshl_b64 s[8:9], s[8:9], 2
	s_add_nc_u64 s[0:1], s[0:1], s[8:9]
	s_delay_alu instid0(VALU_DEP_2) | instskip(SKIP_3) | instid1(VALU_DEP_1)
	v_mad_co_u64_u32 v[6:7], null, s17, v25, v[6:7]
	v_lshlrev_b64_e32 v[10:11], 2, v[8:9]
	v_add_nc_u32_e32 v8, s18, v8
	s_add_nc_u64 s[0:1], s[0:1], s[10:11]
	v_lshlrev_b64_e32 v[12:13], 2, v[8:9]
	s_delay_alu instid0(VALU_DEP_4) | instskip(SKIP_1) | instid1(VALU_DEP_1)
	v_lshlrev_b64_e32 v[5:6], 2, v[5:6]
	v_add_nc_u32_e32 v8, s18, v8
	v_lshlrev_b64_e32 v[14:15], 2, v[8:9]
	s_delay_alu instid0(VALU_DEP_3) | instskip(NEXT) | instid1(VALU_DEP_4)
	v_add_co_u32 v26, vcc_lo, s0, v5
	v_add_co_ci_u32_e32 v27, vcc_lo, s1, v6, vcc_lo
	v_add_nc_u32_e32 v8, s18, v8
	s_delay_alu instid0(VALU_DEP_3) | instskip(SKIP_1) | instid1(VALU_DEP_3)
	v_add_co_u32 v1, vcc_lo, v26, v1
	s_wait_alu 0xfffd
	v_add_co_ci_u32_e32 v2, vcc_lo, v27, v2, vcc_lo
	v_add_co_u32 v3, vcc_lo, v26, v3
	s_wait_alu 0xfffd
	v_add_co_ci_u32_e32 v4, vcc_lo, v27, v4, vcc_lo
	v_add_co_u32 v5, vcc_lo, v26, v10
	v_lshlrev_b64_e32 v[16:17], 2, v[8:9]
	v_add_nc_u32_e32 v8, s18, v8
	s_wait_alu 0xfffd
	v_add_co_ci_u32_e32 v6, vcc_lo, v27, v11, vcc_lo
	v_add_co_u32 v10, vcc_lo, v26, v12
	s_wait_alu 0xfffd
	v_add_co_ci_u32_e32 v11, vcc_lo, v27, v13, vcc_lo
	v_lshlrev_b64_e32 v[18:19], 2, v[8:9]
	v_add_nc_u32_e32 v8, s18, v8
	v_add_co_u32 v12, vcc_lo, v26, v14
	s_wait_alu 0xfffd
	v_add_co_ci_u32_e32 v13, vcc_lo, v27, v15, vcc_lo
	v_add_co_u32 v14, vcc_lo, v26, v16
	s_wait_alu 0xfffd
	v_add_co_ci_u32_e32 v15, vcc_lo, v27, v17, vcc_lo
	v_lshlrev_b64_e32 v[16:17], 2, v[8:9]
	v_add_nc_u32_e32 v8, s18, v8
	v_add_co_u32 v18, vcc_lo, v26, v18
	s_wait_alu 0xfffd
	v_add_co_ci_u32_e32 v19, vcc_lo, v27, v19, vcc_lo
	s_delay_alu instid0(VALU_DEP_3) | instskip(SKIP_4) | instid1(VALU_DEP_3)
	v_lshlrev_b64_e32 v[20:21], 2, v[8:9]
	v_add_nc_u32_e32 v8, s18, v8
	v_add_co_u32 v16, vcc_lo, v26, v16
	s_wait_alu 0xfffd
	v_add_co_ci_u32_e32 v17, vcc_lo, v27, v17, vcc_lo
	v_lshlrev_b64_e32 v[22:23], 2, v[8:9]
	v_add_nc_u32_e32 v8, s18, v8
	v_add_co_u32 v20, vcc_lo, v26, v20
	s_wait_alu 0xfffd
	v_add_co_ci_u32_e32 v21, vcc_lo, v27, v21, vcc_lo
	s_delay_alu instid0(VALU_DEP_3) | instskip(SKIP_4) | instid1(VALU_DEP_3)
	v_lshlrev_b64_e32 v[7:8], 2, v[8:9]
	v_add_co_u32 v22, vcc_lo, v26, v22
	s_wait_alu 0xfffd
	v_add_co_ci_u32_e32 v23, vcc_lo, v27, v23, vcc_lo
	s_add_nc_u64 s[0:1], s[24:25], s[6:7]
	v_add_co_u32 v7, vcc_lo, v26, v7
	s_wait_alu 0xfffd
	v_add_co_ci_u32_e32 v8, vcc_lo, v27, v8, vcc_lo
	s_clause 0xa
	global_load_b32 v1, v[1:2], off
	global_load_b32 v2, v[3:4], off
	;; [unrolled: 1-line block ×11, first 2 shown]
	v_mul_u32_u24_e32 v8, 0x1746, v0
	v_mul_u32_u24_e32 v17, 0x1e4, v24
	s_load_b64 s[0:1], s[0:1], 0x0
	s_mul_i32 s6, s14, 11
	s_delay_alu instid0(VALU_DEP_2) | instskip(NEXT) | instid1(VALU_DEP_1)
	v_lshrrev_b32_e32 v8, 16, v8
	v_add_nc_u32_e32 v12, s26, v8
	v_mul_lo_u16 v16, v8, 11
	s_delay_alu instid0(VALU_DEP_2) | instskip(NEXT) | instid1(VALU_DEP_2)
	v_mul_hi_u32 v14, 0xba2e8ba3, v12
	v_sub_nc_u16 v0, v0, v16
	v_lshlrev_b32_e32 v16, 2, v25
	s_delay_alu instid0(VALU_DEP_1) | instskip(NEXT) | instid1(VALU_DEP_4)
	v_add3_u32 v16, 0, v17, v16
	v_lshrrev_b32_e32 v14, 3, v14
	s_wait_kmcnt 0x0
	s_mul_u64 s[0:1], s[0:1], s[22:23]
	s_wait_alu 0xfffe
	s_lshl_b64 s[0:1], s[0:1], 2
	v_add_nc_u32_e32 v18, 0x200, v16
	v_mul_lo_u32 v14, v14, 11
	v_add_nc_u32_e32 v19, 0x600, v16
	v_add_nc_u32_e32 v20, 0xa00, v16
	;; [unrolled: 1-line block ×3, first 2 shown]
	s_wait_alu 0xfffe
	s_add_nc_u64 s[0:1], s[2:3], s[0:1]
	s_wait_loadcnt 0x9
	ds_store_2addr_b32 v16, v1, v2 offset1:121
	s_wait_loadcnt 0x7
	ds_store_2addr_b32 v18, v3, v4 offset0:114 offset1:235
	s_wait_loadcnt 0x5
	ds_store_2addr_b32 v19, v5, v6 offset0:100 offset1:221
	s_wait_loadcnt 0x3
	ds_store_2addr_b32 v20, v10, v11 offset0:86 offset1:207
	s_wait_loadcnt 0x1
	ds_store_2addr_b32 v21, v13, v15 offset0:72 offset1:193
	s_wait_loadcnt 0x0
	ds_store_b32 v16, v7 offset:4840
	v_sub_nc_u32_e32 v12, v12, v14
	v_and_b32_e32 v14, 0xffff, v0
	global_wb scope:SCOPE_SE
	s_wait_dscnt 0x0
	s_barrier_signal -1
	s_barrier_wait -1
	v_mul_u32_u24_e32 v0, 0x79, v12
	v_lshlrev_b32_e32 v17, 2, v14
	global_inv scope:SCOPE_SE
	v_mul_u32_u24_e32 v15, 10, v14
	v_lshlrev_b32_e32 v0, 2, v0
	s_delay_alu instid0(VALU_DEP_2) | instskip(NEXT) | instid1(VALU_DEP_2)
	v_lshlrev_b32_e32 v15, 2, v15
	v_add3_u32 v12, 0, v17, v0
	v_add3_u32 v13, 0, v0, v17
	ds_load_2addr_b32 v[10:11], v12 offset0:11 offset1:22
	ds_load_2addr_b32 v[6:7], v12 offset0:33 offset1:44
	;; [unrolled: 1-line block ×5, first 2 shown]
	ds_load_b32 v16, v13
	v_mad_u32_u24 v17, v14, 40, v12
	global_wb scope:SCOPE_SE
	s_wait_dscnt 0x0
	s_barrier_signal -1
	s_barrier_wait -1
	global_inv scope:SCOPE_SE
	v_lshrrev_b32_e32 v18, 16, v10
	v_lshrrev_b32_e32 v19, 16, v11
	;; [unrolled: 1-line block ×5, first 2 shown]
	v_add_f16_e32 v29, v1, v10
	v_sub_f16_e32 v30, v10, v1
	v_add_f16_e32 v10, v10, v16
	v_add_f16_e32 v39, v27, v18
	v_sub_f16_e32 v40, v18, v27
	v_add_f16_e32 v18, v18, v28
	v_add_f16_e32 v33, v3, v6
	;; [unrolled: 1-line block ×3, first 2 shown]
	v_sub_f16_e32 v34, v6, v3
	v_lshrrev_b32_e32 v21, 16, v7
	v_add_f16_e32 v18, v18, v19
	v_lshrrev_b32_e32 v22, 16, v4
	v_add_f16_e32 v6, v10, v6
	v_lshrrev_b32_e32 v23, 16, v5
	v_lshrrev_b32_e32 v24, 16, v2
	;; [unrolled: 1-line block ×4, first 2 shown]
	v_add_f16_e32 v31, v0, v11
	v_sub_f16_e32 v32, v11, v0
	v_add_f16_e32 v35, v2, v7
	v_sub_f16_e32 v36, v7, v2
	v_sub_f16_e32 v38, v4, v5
	v_add_f16_e32 v6, v6, v7
	v_add_f16_e32 v18, v18, v20
	;; [unrolled: 1-line block ×3, first 2 shown]
	v_mul_f16_e32 v41, 0xb853, v30
	v_mul_f16_e32 v42, 0xbb47, v30
	v_mul_f16_e32 v43, 0xbbeb, v30
	v_mul_f16_e32 v44, 0xba0c, v30
	v_add_f16_e32 v45, v26, v19
	v_sub_f16_e32 v46, v19, v26
	v_mul_f16_e32 v47, 0xbb47, v32
	v_mul_f16_e32 v48, 0xba0c, v32
	v_mul_f16_e32 v49, 0x3482, v32
	v_mul_f16_e32 v50, 0x3beb, v32
	v_add_f16_e32 v51, v25, v20
	v_sub_f16_e32 v52, v20, v25
	;; [unrolled: 6-line block ×3, first 2 shown]
	v_mul_f16_e32 v59, 0xba0c, v36
	v_mul_f16_e32 v60, 0x3beb, v36
	;; [unrolled: 1-line block ×4, first 2 shown]
	v_pack_b32_f16 v11, v30, v29
	v_pack_b32_f16 v30, v32, v31
	;; [unrolled: 1-line block ×4, first 2 shown]
	v_mul_f16_e32 v36, 0xb482, v38
	v_mul_f16_e32 v63, 0x3853, v38
	;; [unrolled: 1-line block ×4, first 2 shown]
	v_add_f16_e32 v66, v23, v22
	v_sub_f16_e32 v67, v22, v23
	v_add_f16_e32 v18, v18, v21
	v_add_f16_e32 v4, v6, v4
	v_pack_b32_f16 v38, v38, v37
	v_mul_f16_e32 v68, 0xb853, v40
	v_mul_f16_e32 v70, 0xbb47, v40
	;; [unrolled: 1-line block ×4, first 2 shown]
	v_fmamk_f16 v69, v39, 0x3abb, v41
	v_fma_f16 v41, v39, 0x3abb, -v41
	v_fmamk_f16 v71, v39, 0x36a6, v42
	v_fma_f16 v42, v39, 0x36a6, -v42
	v_fmamk_f16 v73, v39, 0xb08e, v43
	v_fma_f16 v43, v39, 0xb08e, -v43
	v_fmamk_f16 v75, v39, 0xb93d, v44
	v_fma_f16 v44, v39, 0xb93d, -v44
	v_mul_f16_e32 v76, 0xbb47, v46
	v_fmamk_f16 v77, v45, 0x36a6, v47
	v_fma_f16 v47, v45, 0x36a6, -v47
	v_mul_f16_e32 v78, 0xba0c, v46
	v_fmamk_f16 v79, v45, 0xb93d, v48
	v_fma_f16 v48, v45, 0xb93d, -v48
	v_mul_f16_e32 v80, 0x3482, v46
	v_fmamk_f16 v81, v45, 0xbbad, v49
	v_fma_f16 v49, v45, 0xbbad, -v49
	v_mul_f16_e32 v82, 0x3beb, v46
	v_fmamk_f16 v83, v45, 0xb08e, v50
	v_fma_f16 v50, v45, 0xb08e, -v50
	v_mul_f16_e32 v84, 0xbbeb, v52
	v_fmamk_f16 v85, v51, 0xb08e, v53
	v_fma_f16 v53, v51, 0xb08e, -v53
	v_mul_f16_e32 v86, 0x3482, v52
	v_fmamk_f16 v87, v51, 0xbbad, v54
	v_fma_f16 v54, v51, 0xbbad, -v54
	v_mul_f16_e32 v88, 0x3b47, v52
	v_fmamk_f16 v89, v51, 0x36a6, v55
	v_fma_f16 v55, v51, 0x36a6, -v55
	v_mul_f16_e32 v90, 0xb853, v52
	v_fmamk_f16 v91, v51, 0x3abb, v56
	v_fma_f16 v56, v51, 0x3abb, -v56
	v_mul_f16_e32 v92, 0xba0c, v58
	v_fmamk_f16 v93, v57, 0xb93d, v59
	v_fma_f16 v59, v57, 0xb93d, -v59
	v_mul_f16_e32 v94, 0x3beb, v58
	v_fmamk_f16 v95, v57, 0xb08e, v60
	v_fma_f16 v60, v57, 0xb08e, -v60
	v_fmamk_f16 v96, v57, 0x3abb, v61
	v_fma_f16 v61, v57, 0x3abb, -v61
	v_pack_b32_f16 v10, v39, v40
	v_pack_b32_f16 v19, v45, v46
	;; [unrolled: 1-line block ×3, first 2 shown]
	v_fmamk_f16 v40, v57, 0xbbad, v62
	v_fma_f16 v45, v57, 0xbbad, -v62
	v_pack_b32_f16 v46, v57, v58
	v_mul_f16_e32 v51, 0xb853, v58
	v_mul_f16_e32 v52, 0xb482, v58
	v_fmamk_f16 v57, v66, 0xbbad, v36
	v_fma_f16 v36, v66, 0xbbad, -v36
	v_fmamk_f16 v58, v66, 0x3abb, v63
	v_fma_f16 v62, v66, 0x3abb, -v63
	;; [unrolled: 2-line block ×4, first 2 shown]
	v_mul_f16_e32 v98, 0xb482, v67
	v_pack_b32_f16 v66, v66, v67
	v_mul_f16_e32 v99, 0x3853, v67
	v_mul_f16_e32 v100, 0xba0c, v67
	;; [unrolled: 1-line block ×3, first 2 shown]
	v_pk_mul_f16 v11, 0xbbadb482, v11
	v_add_f16_e32 v4, v4, v5
	v_add_f16_e32 v5, v18, v22
	v_pk_mul_f16 v30, 0x3abb3853, v30
	v_pk_mul_f16 v32, 0xb93dba0c, v32
	;; [unrolled: 1-line block ×4, first 2 shown]
	v_fma_f16 v101, v29, 0x3abb, -v68
	v_fmac_f16_e32 v68, 0x3abb, v29
	v_fma_f16 v102, v29, 0x36a6, -v70
	v_fmac_f16_e32 v70, 0x36a6, v29
	;; [unrolled: 2-line block ×20, first 2 shown]
	v_add_f16_e32 v20, v69, v28
	v_add_f16_e32 v37, v41, v28
	;; [unrolled: 1-line block ×8, first 2 shown]
	v_pk_fma_f16 v44, 0xb482bbad, v10, v11 neg_lo:[0,1,0] neg_hi:[0,1,0]
	v_pk_fma_f16 v73, 0xb482bbad, v10, v11
	v_pk_fma_f16 v10, 0xb482bbad, v10, v11 neg_lo:[0,0,1] neg_hi:[0,0,1]
	v_add_f16_e32 v5, v5, v23
	v_pk_fma_f16 v11, 0x38533abb, v19, v30 neg_lo:[0,1,0] neg_hi:[0,1,0]
	v_pk_fma_f16 v75, 0x38533abb, v19, v30
	v_pk_fma_f16 v19, 0x38533abb, v19, v30 neg_lo:[0,0,1] neg_hi:[0,0,1]
	v_pk_fma_f16 v30, 0xba0cb93d, v39, v32 neg_lo:[0,1,0] neg_hi:[0,1,0]
	v_pk_fma_f16 v116, 0xba0cb93d, v39, v32
	v_pk_fma_f16 v32, 0xba0cb93d, v39, v32 neg_lo:[0,0,1] neg_hi:[0,0,1]
	;; [unrolled: 3-line block ×4, first 2 shown]
	v_add_f16_e32 v21, v101, v16
	v_add_f16_e32 v66, v68, v16
	;; [unrolled: 1-line block ×8, first 2 shown]
	v_pk_add_f16 v44, v44, v16 op_sel:[0,1] op_sel_hi:[1,0]
	v_pk_add_f16 v73, v73, v16 op_sel:[0,1] op_sel_hi:[1,0]
	;; [unrolled: 1-line block ×3, first 2 shown]
	v_add_f16_e32 v2, v4, v2
	v_add_f16_e32 v5, v5, v24
	v_add_f16_e32 v16, v77, v20
	v_add_f16_e32 v20, v47, v37
	v_add_f16_e32 v37, v79, v41
	v_add_f16_e32 v41, v48, v42
	v_add_f16_e32 v6, v81, v69
	v_add_f16_e32 v42, v49, v43
	v_add_f16_e32 v28, v50, v28
	v_add_f16_e32 v18, v29, v21
	v_add_f16_e32 v21, v76, v66
	v_add_f16_e32 v22, v105, v68
	v_add_f16_e32 v29, v78, v70
	v_add_f16_e32 v7, v7, v101
	v_add_f16_e32 v47, v80, v72
	v_add_f16_e32 v48, v106, v102
	v_add_f16_e32 v49, v82, v74
	v_add_f16_e32 v43, v83, v71
	v_pk_add_f16 v11, v11, v44
	v_pk_add_f16 v44, v75, v73
	v_pk_add_f16 v10, v19, v10
	v_add_f16_e32 v2, v2, v3
	v_add_f16_e32 v5, v5, v25
	v_add_f16_e32 v16, v85, v16
	v_add_f16_e32 v19, v53, v20
	v_add_f16_e32 v20, v87, v37
	v_add_f16_e32 v37, v54, v41
	v_add_f16_e32 v6, v89, v6
	v_add_f16_e32 v41, v55, v42
	v_add_f16_e32 v28, v56, v28
	v_add_f16_e32 v4, v31, v18
	v_add_f16_e32 v18, v84, v21
	v_add_f16_e32 v21, v107, v22
	v_add_f16_e32 v22, v86, v29
	v_add_f16_e32 v7, v108, v7
	v_add_f16_e32 v23, v88, v47
	v_add_f16_e32 v29, v109, v48
	v_add_f16_e32 v31, v90, v49
	v_add_f16_e32 v42, v91, v43
	v_pk_add_f16 v11, v30, v11
	v_pk_add_f16 v30, v116, v44
	v_pk_add_f16 v10, v32, v10
	;; [unrolled: 21-line block ×4, first 2 shown]
	v_and_b32_e32 v0, 0xffff, v0
	v_lshlrev_b32_e32 v5, 16, v5
	v_pack_b32_f16 v2, v2, v16
	v_pack_b32_f16 v6, v7, v6
	;; [unrolled: 1-line block ×8, first 2 shown]
	v_alignbit_b32 v10, v10, v24, 16
	v_alignbit_b32 v11, v24, v11, 16
	v_or_b32_e32 v0, v5, v0
	ds_store_2addr_b32 v17, v16, v7 offset0:7 offset1:8
	ds_store_2addr_b32 v17, v18, v3 offset0:9 offset1:10
	;; [unrolled: 1-line block ×5, first 2 shown]
	ds_store_b32 v17, v0
	global_wb scope:SCOPE_SE
	s_wait_dscnt 0x0
	s_barrier_signal -1
	s_barrier_wait -1
	global_inv scope:SCOPE_SE
	s_clause 0x2
	global_load_b128 v[0:3], v15, s[4:5]
	global_load_b128 v[4:7], v15, s[4:5] offset:16
	global_load_b64 v[10:11], v15, s[4:5] offset:32
	v_mad_co_u64_u32 v[15:16], null, s12, v14, 0
	s_lshl_b64 s[4:5], s[20:21], 2
	s_wait_alu 0xfffe
	s_add_nc_u64 s[0:1], s[0:1], s[4:5]
	s_delay_alu instid0(VALU_DEP_1) | instskip(SKIP_3) | instid1(VALU_DEP_2)
	v_mad_co_u64_u32 v[16:17], null, s13, v14, v[16:17]
	v_lshlrev_b32_e32 v17, 2, v8
	v_mul_u32_u24_e32 v14, 0x1e4, v14
	v_mul_lo_u32 v8, s14, v8
	v_add3_u32 v27, 0, v14, v17
	ds_load_2addr_b32 v[17:18], v12 offset0:55 offset1:66
	ds_load_2addr_b32 v[19:20], v12 offset0:77 offset1:88
	;; [unrolled: 1-line block ×4, first 2 shown]
	v_lshlrev_b64_e32 v[14:15], 2, v[15:16]
	ds_load_2addr_b32 v[25:26], v12 offset0:33 offset1:44
	ds_load_b32 v16, v13
	ds_load_u16 v29, v12 offset:222
	global_wb scope:SCOPE_SE
	s_wait_loadcnt_dscnt 0x0
	s_barrier_signal -1
	s_barrier_wait -1
	s_wait_alu 0xfffe
	v_add_co_u32 v28, vcc_lo, s0, v14
	v_lshlrev_b64_e32 v[13:14], 2, v[8:9]
	v_add_nc_u32_e32 v8, s6, v8
	global_inv scope:SCOPE_SE
	s_wait_alu 0xfffd
	v_add_co_ci_u32_e32 v15, vcc_lo, s1, v15, vcc_lo
	v_lshrrev_b32_e32 v30, 16, v18
	v_lshrrev_b32_e32 v31, 16, v19
	;; [unrolled: 1-line block ×20, first 2 shown]
	v_mul_f16_e32 v50, v40, v35
	v_mul_f16_e32 v40, v40, v23
	v_mul_f16_e32 v51, v41, v36
	v_mul_f16_e32 v41, v41, v24
	v_mul_f16_e32 v52, v42, v37
	v_mul_f16_e32 v42, v42, v25
	v_mul_f16_e32 v53, v43, v38
	v_mul_f16_e32 v43, v43, v26
	v_mul_f16_e32 v54, v29, v44
	v_mul_f16_e32 v44, v44, v17
	v_mul_f16_e32 v55, v30, v45
	v_mul_f16_e32 v45, v18, v45
	v_mul_f16_e32 v56, v31, v46
	v_mul_f16_e32 v46, v19, v46
	v_mul_f16_e32 v57, v32, v47
	v_mul_f16_e32 v47, v20, v47
	v_mul_f16_e32 v58, v33, v48
	v_mul_f16_e32 v48, v21, v48
	v_mul_f16_e32 v59, v34, v49
	v_mul_f16_e32 v49, v22, v49
	v_fma_f16 v23, v0, v23, -v50
	v_fmac_f16_e32 v40, v0, v35
	v_fma_f16 v0, v1, v24, -v51
	v_fmac_f16_e32 v41, v1, v36
	;; [unrolled: 2-line block ×8, first 2 shown]
	v_fma_f16 v7, v21, v10, -v58
	v_fma_f16 v17, v22, v11, -v59
	v_fmac_f16_e32 v49, v34, v11
	v_fmac_f16_e32 v48, v33, v10
	v_add_f16_e32 v10, v23, v16
	v_add_f16_e32 v11, v40, v39
	;; [unrolled: 1-line block ×3, first 2 shown]
	v_sub_f16_e32 v24, v0, v7
	v_add_f16_e32 v26, v1, v6
	v_add_f16_e32 v0, v10, v0
	;; [unrolled: 1-line block ×3, first 2 shown]
	v_sub_f16_e32 v30, v1, v6
	v_sub_f16_e32 v20, v23, v17
	;; [unrolled: 1-line block ×3, first 2 shown]
	v_add_f16_e32 v0, v0, v1
	v_add_f16_e32 v1, v10, v42
	v_add_f16_e32 v18, v23, v17
	v_add_f16_e32 v19, v40, v49
	v_add_f16_e32 v23, v41, v48
	v_add_f16_e32 v0, v0, v2
	v_add_f16_e32 v1, v1, v43
	v_sub_f16_e32 v25, v41, v48
	v_sub_f16_e32 v31, v42, v47
	;; [unrolled: 1-line block ×6, first 2 shown]
	v_mul_f16_e32 v11, 0xb853, v21
	v_mul_f16_e32 v41, 0xb853, v20
	;; [unrolled: 1-line block ×10, first 2 shown]
	v_add_f16_e32 v0, v0, v3
	v_add_f16_e32 v1, v1, v44
	;; [unrolled: 1-line block ×7, first 2 shown]
	v_mul_f16_e32 v56, 0xbb47, v25
	v_mul_f16_e32 v57, 0xbb47, v24
	;; [unrolled: 1-line block ×40, first 2 shown]
	v_fma_f16 v10, v18, 0x3abb, -v11
	v_fmamk_f16 v42, v19, 0x3abb, v41
	v_fmac_f16_e32 v11, 0x3abb, v18
	v_fma_f16 v41, v19, 0x3abb, -v41
	v_fma_f16 v88, v18, 0x36a6, -v50
	v_fmamk_f16 v89, v19, 0x36a6, v51
	v_fmac_f16_e32 v50, 0x36a6, v18
	v_fma_f16 v51, v19, 0x36a6, -v51
	;; [unrolled: 4-line block ×5, first 2 shown]
	v_add_f16_e32 v0, v0, v4
	v_add_f16_e32 v1, v1, v45
	v_fma_f16 v19, v22, 0x36a6, -v56
	v_fmamk_f16 v20, v23, 0x36a6, v57
	v_fmac_f16_e32 v56, 0x36a6, v22
	v_fma_f16 v57, v23, 0x36a6, -v57
	v_fma_f16 v96, v22, 0xb93d, -v58
	v_fmamk_f16 v97, v23, 0xb93d, v59
	v_fmac_f16_e32 v58, 0xb93d, v22
	v_fma_f16 v59, v23, 0xb93d, -v59
	;; [unrolled: 4-line block ×10, first 2 shown]
	v_fma_f16 v29, v32, 0xb93d, -v72
	v_fmac_f16_e32 v72, 0xb93d, v32
	v_fma_f16 v30, v32, 0xb08e, -v73
	v_fmac_f16_e32 v73, 0xb08e, v32
	;; [unrolled: 2-line block ×5, first 2 shown]
	v_fmamk_f16 v32, v35, 0xb93d, v76
	v_fma_f16 v76, v35, 0xb93d, -v76
	v_fmamk_f16 v115, v35, 0xb08e, v77
	v_fma_f16 v77, v35, 0xb08e, -v77
	;; [unrolled: 2-line block ×5, first 2 shown]
	v_fma_f16 v35, v37, 0xbbad, -v80
	v_fmac_f16_e32 v80, 0xbbad, v37
	v_fma_f16 v119, v37, 0x3abb, -v81
	v_fmac_f16_e32 v81, 0x3abb, v37
	;; [unrolled: 2-line block ×5, first 2 shown]
	v_fmamk_f16 v37, v40, 0xbbad, v84
	v_fma_f16 v84, v40, 0xbbad, -v84
	v_fmamk_f16 v123, v40, 0x3abb, v85
	v_fma_f16 v85, v40, 0x3abb, -v85
	v_fmamk_f16 v124, v40, 0xb93d, v86
	v_fma_f16 v86, v40, 0xb93d, -v86
	v_fmamk_f16 v125, v40, 0x36a6, v87
	v_fma_f16 v87, v40, 0x36a6, -v87
	v_fmamk_f16 v126, v40, 0xb08e, v38
	v_fma_f16 v38, v40, 0xb08e, -v38
	v_add_f16_e32 v2, v10, v16
	v_add_f16_e32 v10, v11, v16
	;; [unrolled: 1-line block ×108, first 2 shown]
	v_lshlrev_b32_e32 v1, 16, v1
	v_and_b32_e32 v0, 0xffff, v0
	v_pack_b32_f16 v2, v2, v3
	v_pack_b32_f16 v3, v6, v10
	;; [unrolled: 1-line block ×10, first 2 shown]
	v_or_b32_e32 v0, v1, v0
	ds_store_2addr_b32 v12, v3, v6 offset0:22 offset1:33
	ds_store_2addr_b32 v12, v7, v10 offset0:44 offset1:55
	;; [unrolled: 1-line block ×4, first 2 shown]
	ds_store_b32 v12, v4 offset:440
	ds_store_2addr_b32 v12, v0, v2 offset1:11
	global_wb scope:SCOPE_SE
	s_wait_dscnt 0x0
	s_barrier_signal -1
	s_barrier_wait -1
	global_inv scope:SCOPE_SE
	ds_load_2addr_b32 v[0:1], v27 offset1:11
	ds_load_2addr_b32 v[4:5], v27 offset0:22 offset1:33
	v_lshlrev_b64_e32 v[2:3], 2, v[8:9]
	v_add_nc_u32_e32 v8, s6, v8
	v_add_co_u32 v6, vcc_lo, v28, v13
	s_wait_alu 0xfffd
	v_add_co_ci_u32_e32 v7, vcc_lo, v15, v14, vcc_lo
	s_delay_alu instid0(VALU_DEP_3) | instskip(SKIP_4) | instid1(VALU_DEP_4)
	v_lshlrev_b64_e32 v[10:11], 2, v[8:9]
	v_add_co_u32 v2, vcc_lo, v28, v2
	v_add_nc_u32_e32 v8, s6, v8
	s_wait_alu 0xfffd
	v_add_co_ci_u32_e32 v3, vcc_lo, v15, v3, vcc_lo
	v_add_co_u32 v10, vcc_lo, v28, v10
	s_wait_alu 0xfffd
	v_add_co_ci_u32_e32 v11, vcc_lo, v15, v11, vcc_lo
	v_lshlrev_b64_e32 v[12:13], 2, v[8:9]
	v_add_nc_u32_e32 v8, s6, v8
	s_wait_dscnt 0x1
	s_clause 0x1
	global_store_b32 v[6:7], v0, off
	global_store_b32 v[2:3], v1, off
	s_wait_dscnt 0x0
	global_store_b32 v[10:11], v4, off
	ds_load_2addr_b32 v[0:1], v27 offset0:44 offset1:55
	v_lshlrev_b64_e32 v[2:3], 2, v[8:9]
	v_add_nc_u32_e32 v8, s6, v8
	v_add_co_u32 v6, vcc_lo, v28, v12
	s_wait_alu 0xfffd
	v_add_co_ci_u32_e32 v7, vcc_lo, v15, v13, vcc_lo
	s_delay_alu instid0(VALU_DEP_3) | instskip(SKIP_4) | instid1(VALU_DEP_4)
	v_lshlrev_b64_e32 v[10:11], 2, v[8:9]
	v_add_nc_u32_e32 v8, s6, v8
	v_add_co_u32 v2, vcc_lo, v28, v2
	s_wait_alu 0xfffd
	v_add_co_ci_u32_e32 v3, vcc_lo, v15, v3, vcc_lo
	v_add_co_u32 v10, vcc_lo, v28, v10
	v_lshlrev_b64_e32 v[12:13], 2, v[8:9]
	v_add_nc_u32_e32 v8, s6, v8
	s_wait_alu 0xfffd
	v_add_co_ci_u32_e32 v11, vcc_lo, v15, v11, vcc_lo
	global_store_b32 v[6:7], v5, off
	s_wait_dscnt 0x0
	s_clause 0x1
	global_store_b32 v[2:3], v0, off
	global_store_b32 v[10:11], v1, off
	v_lshlrev_b64_e32 v[2:3], 2, v[8:9]
	v_add_nc_u32_e32 v8, s6, v8
	ds_load_2addr_b32 v[0:1], v27 offset0:66 offset1:77
	ds_load_2addr_b32 v[6:7], v27 offset0:88 offset1:99
	v_add_co_u32 v4, vcc_lo, v28, v12
	v_lshlrev_b64_e32 v[10:11], 2, v[8:9]
	v_add_nc_u32_e32 v8, s6, v8
	ds_load_b32 v14, v27 offset:440
	s_wait_alu 0xfffd
	v_add_co_ci_u32_e32 v5, vcc_lo, v15, v13, vcc_lo
	v_add_co_u32 v2, vcc_lo, v28, v2
	v_lshlrev_b64_e32 v[12:13], 2, v[8:9]
	v_add_nc_u32_e32 v8, s6, v8
	s_wait_alu 0xfffd
	v_add_co_ci_u32_e32 v3, vcc_lo, v15, v3, vcc_lo
	v_add_co_u32 v10, vcc_lo, v28, v10
	s_delay_alu instid0(VALU_DEP_3)
	v_lshlrev_b64_e32 v[8:9], 2, v[8:9]
	s_wait_alu 0xfffd
	v_add_co_ci_u32_e32 v11, vcc_lo, v15, v11, vcc_lo
	v_add_co_u32 v12, vcc_lo, v28, v12
	s_wait_alu 0xfffd
	v_add_co_ci_u32_e32 v13, vcc_lo, v15, v13, vcc_lo
	v_add_co_u32 v8, vcc_lo, v28, v8
	s_wait_alu 0xfffd
	v_add_co_ci_u32_e32 v9, vcc_lo, v15, v9, vcc_lo
	s_wait_dscnt 0x2
	s_clause 0x1
	global_store_b32 v[4:5], v0, off
	global_store_b32 v[2:3], v1, off
	s_wait_dscnt 0x1
	s_clause 0x1
	global_store_b32 v[10:11], v6, off
	global_store_b32 v[12:13], v7, off
	s_wait_dscnt 0x0
	global_store_b32 v[8:9], v14, off
	s_nop 0
	s_sendmsg sendmsg(MSG_DEALLOC_VGPRS)
	s_endpgm
	.section	.rodata,"a",@progbits
	.p2align	6, 0x0
	.amdhsa_kernel fft_rtc_fwd_len121_factors_11_11_wgs_121_tpt_11_half_op_CI_CI_sbrc_aligned
		.amdhsa_group_segment_fixed_size 0
		.amdhsa_private_segment_fixed_size 0
		.amdhsa_kernarg_size 104
		.amdhsa_user_sgpr_count 2
		.amdhsa_user_sgpr_dispatch_ptr 0
		.amdhsa_user_sgpr_queue_ptr 0
		.amdhsa_user_sgpr_kernarg_segment_ptr 1
		.amdhsa_user_sgpr_dispatch_id 0
		.amdhsa_user_sgpr_private_segment_size 0
		.amdhsa_wavefront_size32 1
		.amdhsa_uses_dynamic_stack 0
		.amdhsa_enable_private_segment 0
		.amdhsa_system_sgpr_workgroup_id_x 1
		.amdhsa_system_sgpr_workgroup_id_y 0
		.amdhsa_system_sgpr_workgroup_id_z 0
		.amdhsa_system_sgpr_workgroup_info 0
		.amdhsa_system_vgpr_workitem_id 0
		.amdhsa_next_free_vgpr 127
		.amdhsa_next_free_sgpr 50
		.amdhsa_reserve_vcc 1
		.amdhsa_float_round_mode_32 0
		.amdhsa_float_round_mode_16_64 0
		.amdhsa_float_denorm_mode_32 3
		.amdhsa_float_denorm_mode_16_64 3
		.amdhsa_fp16_overflow 0
		.amdhsa_workgroup_processor_mode 1
		.amdhsa_memory_ordered 1
		.amdhsa_forward_progress 0
		.amdhsa_round_robin_scheduling 0
		.amdhsa_exception_fp_ieee_invalid_op 0
		.amdhsa_exception_fp_denorm_src 0
		.amdhsa_exception_fp_ieee_div_zero 0
		.amdhsa_exception_fp_ieee_overflow 0
		.amdhsa_exception_fp_ieee_underflow 0
		.amdhsa_exception_fp_ieee_inexact 0
		.amdhsa_exception_int_div_zero 0
	.end_amdhsa_kernel
	.text
.Lfunc_end0:
	.size	fft_rtc_fwd_len121_factors_11_11_wgs_121_tpt_11_half_op_CI_CI_sbrc_aligned, .Lfunc_end0-fft_rtc_fwd_len121_factors_11_11_wgs_121_tpt_11_half_op_CI_CI_sbrc_aligned
                                        ; -- End function
	.section	.AMDGPU.csdata,"",@progbits
; Kernel info:
; codeLenInByte = 7620
; NumSgprs: 52
; NumVgprs: 127
; ScratchSize: 0
; MemoryBound: 0
; FloatMode: 240
; IeeeMode: 1
; LDSByteSize: 0 bytes/workgroup (compile time only)
; SGPRBlocks: 6
; VGPRBlocks: 15
; NumSGPRsForWavesPerEU: 52
; NumVGPRsForWavesPerEU: 127
; Occupancy: 10
; WaveLimiterHint : 1
; COMPUTE_PGM_RSRC2:SCRATCH_EN: 0
; COMPUTE_PGM_RSRC2:USER_SGPR: 2
; COMPUTE_PGM_RSRC2:TRAP_HANDLER: 0
; COMPUTE_PGM_RSRC2:TGID_X_EN: 1
; COMPUTE_PGM_RSRC2:TGID_Y_EN: 0
; COMPUTE_PGM_RSRC2:TGID_Z_EN: 0
; COMPUTE_PGM_RSRC2:TIDIG_COMP_CNT: 0
	.text
	.p2alignl 7, 3214868480
	.fill 96, 4, 3214868480
	.type	__hip_cuid_ca93d33cde423a90,@object ; @__hip_cuid_ca93d33cde423a90
	.section	.bss,"aw",@nobits
	.globl	__hip_cuid_ca93d33cde423a90
__hip_cuid_ca93d33cde423a90:
	.byte	0                               ; 0x0
	.size	__hip_cuid_ca93d33cde423a90, 1

	.ident	"AMD clang version 19.0.0git (https://github.com/RadeonOpenCompute/llvm-project roc-6.4.0 25133 c7fe45cf4b819c5991fe208aaa96edf142730f1d)"
	.section	".note.GNU-stack","",@progbits
	.addrsig
	.addrsig_sym __hip_cuid_ca93d33cde423a90
	.amdgpu_metadata
---
amdhsa.kernels:
  - .args:
      - .actual_access:  read_only
        .address_space:  global
        .offset:         0
        .size:           8
        .value_kind:     global_buffer
      - .offset:         8
        .size:           8
        .value_kind:     by_value
      - .actual_access:  read_only
        .address_space:  global
        .offset:         16
        .size:           8
        .value_kind:     global_buffer
      - .actual_access:  read_only
        .address_space:  global
        .offset:         24
        .size:           8
        .value_kind:     global_buffer
      - .actual_access:  read_only
        .address_space:  global
        .offset:         32
        .size:           8
        .value_kind:     global_buffer
      - .offset:         40
        .size:           8
        .value_kind:     by_value
      - .actual_access:  read_only
        .address_space:  global
        .offset:         48
        .size:           8
        .value_kind:     global_buffer
      - .actual_access:  read_only
        .address_space:  global
        .offset:         56
        .size:           8
        .value_kind:     global_buffer
      - .offset:         64
        .size:           4
        .value_kind:     by_value
      - .actual_access:  read_only
        .address_space:  global
        .offset:         72
        .size:           8
        .value_kind:     global_buffer
      - .actual_access:  read_only
        .address_space:  global
        .offset:         80
        .size:           8
        .value_kind:     global_buffer
      - .actual_access:  read_only
        .address_space:  global
        .offset:         88
        .size:           8
        .value_kind:     global_buffer
      - .actual_access:  write_only
        .address_space:  global
        .offset:         96
        .size:           8
        .value_kind:     global_buffer
    .group_segment_fixed_size: 0
    .kernarg_segment_align: 8
    .kernarg_segment_size: 104
    .language:       OpenCL C
    .language_version:
      - 2
      - 0
    .max_flat_workgroup_size: 121
    .name:           fft_rtc_fwd_len121_factors_11_11_wgs_121_tpt_11_half_op_CI_CI_sbrc_aligned
    .private_segment_fixed_size: 0
    .sgpr_count:     52
    .sgpr_spill_count: 0
    .symbol:         fft_rtc_fwd_len121_factors_11_11_wgs_121_tpt_11_half_op_CI_CI_sbrc_aligned.kd
    .uniform_work_group_size: 1
    .uses_dynamic_stack: false
    .vgpr_count:     127
    .vgpr_spill_count: 0
    .wavefront_size: 32
    .workgroup_processor_mode: 1
amdhsa.target:   amdgcn-amd-amdhsa--gfx1201
amdhsa.version:
  - 1
  - 2
...

	.end_amdgpu_metadata
